;; amdgpu-corpus repo=ROCm/rocFFT kind=compiled arch=gfx1030 opt=O3
	.text
	.amdgcn_target "amdgcn-amd-amdhsa--gfx1030"
	.amdhsa_code_object_version 6
	.protected	fft_rtc_back_len512_factors_8_8_8_wgs_256_tpt_64_dp_op_CI_CI_sbcc_twdbase6_3step_dirReg_intrinsicReadWrite ; -- Begin function fft_rtc_back_len512_factors_8_8_8_wgs_256_tpt_64_dp_op_CI_CI_sbcc_twdbase6_3step_dirReg_intrinsicReadWrite
	.globl	fft_rtc_back_len512_factors_8_8_8_wgs_256_tpt_64_dp_op_CI_CI_sbcc_twdbase6_3step_dirReg_intrinsicReadWrite
	.p2align	8
	.type	fft_rtc_back_len512_factors_8_8_8_wgs_256_tpt_64_dp_op_CI_CI_sbcc_twdbase6_3step_dirReg_intrinsicReadWrite,@function
fft_rtc_back_len512_factors_8_8_8_wgs_256_tpt_64_dp_op_CI_CI_sbcc_twdbase6_3step_dirReg_intrinsicReadWrite: ; @fft_rtc_back_len512_factors_8_8_8_wgs_256_tpt_64_dp_op_CI_CI_sbcc_twdbase6_3step_dirReg_intrinsicReadWrite
; %bb.0:
	s_clause 0x1
	s_load_dwordx8 s[8:15], s[4:5], 0x8
	s_load_dwordx2 s[26:27], s[4:5], 0x28
	s_mov_b32 s0, exec_lo
	v_cmpx_gt_u32_e32 0xc0, v0
	s_cbranch_execz .LBB0_2
; %bb.1:
	v_lshlrev_b32_e32 v5, 4, v0
	s_waitcnt lgkmcnt(0)
	global_load_dwordx4 v[1:4], v5, s[8:9]
	v_add3_u32 v5, 0, v5, 0x8000
	s_waitcnt vmcnt(0)
	ds_write2_b64 v5, v[1:2], v[3:4] offset1:1
.LBB0_2:
	s_or_b32 exec_lo, exec_lo, s0
	s_waitcnt lgkmcnt(0)
	s_load_dwordx2 s[24:25], s[12:13], 0x8
	s_mov_b32 s7, 0
	s_mov_b64 s[30:31], 0
	s_waitcnt lgkmcnt(0)
	s_add_u32 s0, s24, -1
	s_addc_u32 s1, s25, -1
	s_lshr_b64 s[0:1], s[0:1], 2
	s_add_u32 s28, s0, 1
	s_addc_u32 s29, s1, 0
	v_cmp_lt_u64_e64 s0, s[6:7], s[28:29]
	s_and_b32 vcc_lo, exec_lo, s0
	s_cbranch_vccnz .LBB0_4
; %bb.3:
	v_cvt_f32_u32_e32 v1, s28
	s_sub_i32 s1, 0, s28
	s_mov_b32 s31, s7
	v_rcp_iflag_f32_e32 v1, v1
	v_mul_f32_e32 v1, 0x4f7ffffe, v1
	v_cvt_u32_f32_e32 v1, v1
	v_readfirstlane_b32 s0, v1
	s_mul_i32 s1, s1, s0
	s_mul_hi_u32 s1, s0, s1
	s_add_i32 s0, s0, s1
	s_mul_hi_u32 s0, s6, s0
	s_mul_i32 s1, s0, s28
	s_add_i32 s2, s0, 1
	s_sub_i32 s1, s6, s1
	s_sub_i32 s3, s1, s28
	s_cmp_ge_u32 s1, s28
	s_cselect_b32 s0, s2, s0
	s_cselect_b32 s1, s3, s1
	s_add_i32 s2, s0, 1
	s_cmp_ge_u32 s1, s28
	s_cselect_b32 s30, s2, s0
.LBB0_4:
	s_load_dwordx4 s[20:23], s[14:15], 0x0
	s_load_dwordx4 s[0:3], s[26:27], 0x0
	s_waitcnt lgkmcnt(0)
	s_mul_i32 s1, s30, s29
	s_mul_hi_u32 s8, s30, s28
	s_mul_i32 s9, s30, s28
	s_add_i32 s8, s8, s1
	s_sub_u32 s34, s6, s9
	s_subb_u32 s35, 0, s8
	s_clause 0x1
	s_load_dwordx4 s[16:19], s[4:5], 0x60
	s_load_dwordx2 s[8:9], s[4:5], 0x0
	v_alignbit_b32 v1, s35, s34, 30
	s_lshl_b64 s[4:5], s[34:35], 2
	v_cmp_lt_u64_e64 s1, s[10:11], 3
	s_and_b32 vcc_lo, exec_lo, s1
	v_mul_lo_u32 v2, s22, v1
	v_mul_lo_u32 v1, s2, v1
	s_mul_hi_u32 s21, s22, s4
	s_mul_hi_u32 s34, s2, s4
	s_mul_i32 s23, s23, s4
	s_mul_i32 s33, s22, s4
	;; [unrolled: 1-line block ×3, first 2 shown]
	v_add_nc_u32_e32 v3, s21, v2
	v_add_nc_u32_e32 v4, s34, v1
	s_mul_i32 s21, s2, s4
	v_mov_b32_e32 v2, s33
	v_mov_b32_e32 v1, s21
	v_add_nc_u32_e32 v3, s23, v3
	v_add_nc_u32_e32 v4, s3, v4
	s_cbranch_vccnz .LBB0_13
; %bb.5:
	s_add_u32 s34, s26, 16
	s_addc_u32 s35, s27, 0
	s_add_u32 s36, s14, 16
	s_addc_u32 s37, s15, 0
	;; [unrolled: 2-line block ×3, first 2 shown]
	s_mov_b64 s[38:39], 2
	s_mov_b32 s40, 0
	s_branch .LBB0_7
.LBB0_6:                                ;   in Loop: Header=BB0_7 Depth=1
	s_load_dwordx2 s[46:47], s[36:37], 0x0
	s_load_dwordx2 s[48:49], s[34:35], 0x0
	s_mul_i32 s1, s42, s29
	s_mul_hi_u32 s3, s42, s28
	s_mul_i32 s23, s44, s43
	s_mul_hi_u32 s29, s44, s42
	s_mul_i32 s21, s43, s28
	s_mul_i32 s33, s45, s42
	s_add_i32 s1, s3, s1
	s_add_i32 s3, s29, s23
	s_mul_i32 s41, s44, s42
	s_add_i32 s29, s1, s21
	s_add_i32 s3, s3, s33
	s_sub_u32 s1, s30, s41
	s_subb_u32 s3, s31, s3
	s_mul_i32 s28, s42, s28
	s_waitcnt lgkmcnt(0)
	s_mul_i32 s21, s46, s3
	s_mul_hi_u32 s23, s46, s1
	s_mul_i32 s3, s48, s3
	s_mul_hi_u32 s33, s48, s1
	s_mul_i32 s30, s47, s1
	s_add_i32 s21, s23, s21
	s_add_i32 s3, s33, s3
	s_mul_i32 s23, s49, s1
	s_mul_i32 s31, s46, s1
	s_add_i32 s21, s21, s30
	s_add_i32 s3, s3, s23
	v_add_co_u32 v2, vcc_lo, s31, v2
	s_add_u32 s38, s38, 1
	s_mul_i32 s1, s48, s1
	s_addc_u32 s39, s39, 0
	v_add_co_ci_u32_e32 v3, vcc_lo, s21, v3, vcc_lo
	v_add_co_u32 v1, vcc_lo, s1, v1
	v_cmp_ge_u64_e64 s1, s[38:39], s[10:11]
	s_add_u32 s34, s34, 8
	s_addc_u32 s35, s35, 0
	v_add_co_ci_u32_e32 v4, vcc_lo, s3, v4, vcc_lo
	s_add_u32 s36, s36, 8
	s_addc_u32 s37, s37, 0
	s_add_u32 s12, s12, 8
	s_addc_u32 s13, s13, 0
	s_and_b32 vcc_lo, exec_lo, s1
	s_mov_b64 s[30:31], s[44:45]
	s_cbranch_vccnz .LBB0_11
.LBB0_7:                                ; =>This Inner Loop Header: Depth=1
	s_load_dwordx2 s[42:43], s[12:13], 0x0
	s_mov_b32 s1, -1
	s_waitcnt lgkmcnt(0)
	s_or_b64 s[44:45], s[30:31], s[42:43]
	s_mov_b32 s41, s45
                                        ; implicit-def: $sgpr44_sgpr45
	s_cmp_lg_u64 s[40:41], 0
	s_cbranch_scc0 .LBB0_9
; %bb.8:                                ;   in Loop: Header=BB0_7 Depth=1
	v_cvt_f32_u32_e32 v5, s42
	v_cvt_f32_u32_e32 v6, s43
	s_sub_u32 s21, 0, s42
	s_subb_u32 s23, 0, s43
	v_fmac_f32_e32 v5, 0x4f800000, v6
	v_rcp_f32_e32 v5, v5
	v_mul_f32_e32 v5, 0x5f7ffffc, v5
	v_mul_f32_e32 v6, 0x2f800000, v5
	v_trunc_f32_e32 v6, v6
	v_fmac_f32_e32 v5, 0xcf800000, v6
	v_cvt_u32_f32_e32 v6, v6
	v_cvt_u32_f32_e32 v5, v5
	v_readfirstlane_b32 s1, v6
	v_readfirstlane_b32 s3, v5
	s_mul_i32 s33, s21, s1
	s_mul_hi_u32 s44, s21, s3
	s_mul_i32 s41, s23, s3
	s_add_i32 s33, s44, s33
	s_mul_i32 s45, s21, s3
	s_add_i32 s33, s33, s41
	s_mul_hi_u32 s44, s3, s45
	s_mul_hi_u32 s46, s1, s45
	s_mul_i32 s41, s1, s45
	s_mul_hi_u32 s45, s3, s33
	s_mul_i32 s3, s3, s33
	s_mul_hi_u32 s47, s1, s33
	s_add_u32 s3, s44, s3
	s_addc_u32 s44, 0, s45
	s_add_u32 s3, s3, s41
	s_mul_i32 s33, s1, s33
	s_addc_u32 s3, s44, s46
	s_addc_u32 s41, s47, 0
	s_add_u32 s3, s3, s33
	s_addc_u32 s33, 0, s41
	v_add_co_u32 v5, s3, v5, s3
	s_cmp_lg_u32 s3, 0
	s_addc_u32 s1, s1, s33
	v_readfirstlane_b32 s3, v5
	s_mul_i32 s33, s21, s1
	s_mul_hi_u32 s41, s21, s3
	s_mul_i32 s23, s23, s3
	s_add_i32 s33, s41, s33
	s_mul_i32 s21, s21, s3
	s_add_i32 s33, s33, s23
	s_mul_hi_u32 s41, s1, s21
	s_mul_i32 s44, s1, s21
	s_mul_hi_u32 s21, s3, s21
	s_mul_hi_u32 s45, s3, s33
	s_mul_i32 s3, s3, s33
	s_mul_hi_u32 s23, s1, s33
	s_add_u32 s3, s21, s3
	s_addc_u32 s21, 0, s45
	s_add_u32 s3, s3, s44
	s_mul_i32 s33, s1, s33
	s_addc_u32 s3, s21, s41
	s_addc_u32 s21, s23, 0
	s_add_u32 s3, s3, s33
	s_addc_u32 s21, 0, s21
	v_add_co_u32 v5, s3, v5, s3
	s_cmp_lg_u32 s3, 0
	s_addc_u32 s1, s1, s21
	v_readfirstlane_b32 s3, v5
	s_mul_i32 s23, s30, s1
	s_mul_hi_u32 s21, s30, s1
	s_mul_hi_u32 s33, s31, s1
	s_mul_i32 s1, s31, s1
	s_mul_hi_u32 s41, s30, s3
	s_mul_hi_u32 s44, s31, s3
	s_mul_i32 s3, s31, s3
	s_add_u32 s23, s41, s23
	s_addc_u32 s21, 0, s21
	s_add_u32 s3, s23, s3
	s_addc_u32 s3, s21, s44
	s_addc_u32 s21, s33, 0
	s_add_u32 s3, s3, s1
	s_addc_u32 s21, 0, s21
	s_mul_hi_u32 s1, s42, s3
	s_mul_i32 s33, s42, s21
	s_mul_i32 s41, s42, s3
	s_add_i32 s1, s1, s33
	v_sub_co_u32 v5, s33, s30, s41
	s_mul_i32 s23, s43, s3
	s_add_i32 s1, s1, s23
	v_sub_co_u32 v6, s41, v5, s42
	s_sub_i32 s23, s31, s1
	s_cmp_lg_u32 s33, 0
	s_subb_u32 s23, s23, s43
	s_cmp_lg_u32 s41, 0
	v_readfirstlane_b32 s41, v6
	s_subb_u32 s23, s23, 0
	s_cmp_ge_u32 s23, s43
	s_cselect_b32 s44, -1, 0
	s_cmp_ge_u32 s41, s42
	s_cselect_b32 s41, -1, 0
	s_cmp_eq_u32 s23, s43
	s_cselect_b32 s23, s41, s44
	s_add_u32 s41, s3, 1
	s_addc_u32 s44, s21, 0
	s_add_u32 s45, s3, 2
	s_addc_u32 s46, s21, 0
	s_cmp_lg_u32 s23, 0
	s_cselect_b32 s23, s45, s41
	s_cselect_b32 s41, s46, s44
	s_cmp_lg_u32 s33, 0
	v_readfirstlane_b32 s33, v5
	s_subb_u32 s1, s31, s1
	s_cmp_ge_u32 s1, s43
	s_cselect_b32 s44, -1, 0
	s_cmp_ge_u32 s33, s42
	s_cselect_b32 s33, -1, 0
	s_cmp_eq_u32 s1, s43
	s_cselect_b32 s1, s33, s44
	s_cmp_lg_u32 s1, 0
	s_mov_b32 s1, 0
	s_cselect_b32 s45, s41, s21
	s_cselect_b32 s44, s23, s3
.LBB0_9:                                ;   in Loop: Header=BB0_7 Depth=1
	s_andn2_b32 vcc_lo, exec_lo, s1
	s_cbranch_vccnz .LBB0_6
; %bb.10:                               ;   in Loop: Header=BB0_7 Depth=1
	v_cvt_f32_u32_e32 v5, s42
	s_sub_i32 s3, 0, s42
	s_mov_b32 s45, s40
	v_rcp_iflag_f32_e32 v5, v5
	v_mul_f32_e32 v5, 0x4f7ffffe, v5
	v_cvt_u32_f32_e32 v5, v5
	v_readfirstlane_b32 s1, v5
	s_mul_i32 s3, s3, s1
	s_mul_hi_u32 s3, s1, s3
	s_add_i32 s1, s1, s3
	s_mul_hi_u32 s1, s30, s1
	s_mul_i32 s3, s1, s42
	s_add_i32 s21, s1, 1
	s_sub_i32 s3, s30, s3
	s_sub_i32 s23, s3, s42
	s_cmp_ge_u32 s3, s42
	s_cselect_b32 s1, s21, s1
	s_cselect_b32 s3, s23, s3
	s_add_i32 s21, s1, 1
	s_cmp_ge_u32 s3, s42
	s_cselect_b32 s44, s21, s1
	s_branch .LBB0_6
.LBB0_11:
	v_cmp_lt_u64_e64 s1, s[6:7], s[28:29]
	s_mov_b64 s[30:31], 0
	s_and_b32 vcc_lo, exec_lo, s1
	s_cbranch_vccnz .LBB0_13
; %bb.12:
	v_cvt_f32_u32_e32 v3, s28
	s_sub_i32 s3, 0, s28
	v_rcp_iflag_f32_e32 v3, v3
	v_mul_f32_e32 v3, 0x4f7ffffe, v3
	v_cvt_u32_f32_e32 v3, v3
	v_readfirstlane_b32 s1, v3
	s_mul_i32 s3, s3, s1
	s_mul_hi_u32 s3, s1, s3
	s_add_i32 s1, s1, s3
	s_mul_hi_u32 s1, s6, s1
	s_mul_i32 s3, s1, s28
	s_sub_i32 s3, s6, s3
	s_add_i32 s6, s1, 1
	s_sub_i32 s7, s3, s28
	s_cmp_ge_u32 s3, s28
	s_cselect_b32 s1, s6, s1
	s_cselect_b32 s3, s7, s3
	s_add_i32 s6, s1, 1
	s_cmp_ge_u32 s3, s28
	s_cselect_b32 s30, s6, s1
.LBB0_13:
	s_lshl_b64 s[6:7], s[10:11], 3
	v_lshrrev_b32_e32 v43, 2, v0
	s_add_u32 s10, s14, s6
	s_addc_u32 s11, s15, s7
	s_add_u32 s6, s26, s6
	s_load_dword s1, s[10:11], 0x0
	s_addc_u32 s7, s27, s7
	v_and_b32_e32 v42, 3, v0
	v_or_b32_e32 v49, 0x180, v43
	v_mov_b32_e32 v29, s5
	v_or_b32_e32 v45, 64, v43
	v_or_b32_e32 v46, 0x80, v43
	;; [unrolled: 1-line block ×3, first 2 shown]
	v_mul_lo_u32 v25, s22, v42
	v_mul_lo_u32 v26, s20, v49
	s_add_u32 s4, s4, 4
	s_addc_u32 s5, s5, 0
	v_cmp_gt_u64_e32 vcc_lo, s[24:25], v[28:29]
	v_or_b32_e32 v44, 0xc0, v43
	v_or_b32_e32 v47, 0x100, v43
	;; [unrolled: 1-line block ×4, first 2 shown]
	v_add_lshl_u32 v26, v25, v26, 4
	v_mul_lo_u32 v5, s20, v45
	v_mul_lo_u32 v9, s20, v46
	s_waitcnt lgkmcnt(0)
	s_mul_i32 s1, s1, s30
	v_mul_lo_u32 v13, s20, v44
	v_add_nc_u32_e32 v2, s1, v2
	s_load_dword s1, s[6:7], 0x0
	s_mov_b32 s7, 0x31014000
	s_mov_b32 s6, -2
	v_mul_lo_u32 v17, s20, v47
	v_lshlrev_b32_e32 v2, 4, v2
	v_mul_lo_u32 v21, s20, v48
	v_add_lshl_u32 v5, v25, v5, 4
	v_add_lshl_u32 v9, v25, v9, 4
	;; [unrolled: 1-line block ×3, first 2 shown]
	s_mov_b32 s11, 0x3fe6a09e
	v_add_lshl_u32 v17, v25, v17, 4
	v_add_lshl_u32 v21, v25, v21, 4
	s_waitcnt lgkmcnt(0)
	s_mul_i32 s1, s1, s30
	v_add_nc_u32_e32 v41, s1, v1
	v_cmp_le_u64_e64 s1, s[4:5], s[24:25]
	s_mov_b32 s4, s16
	s_mov_b32 s5, s17
	v_mul_lo_u32 v1, s20, v43
	s_or_b32 vcc_lo, s1, vcc_lo
	v_readfirstlane_b32 s1, v2
	v_cndmask_b32_e32 v26, -1, v26, vcc_lo
	v_cndmask_b32_e32 v5, -1, v5, vcc_lo
	;; [unrolled: 1-line block ×3, first 2 shown]
	v_add_lshl_u32 v1, v25, v1, 4
	v_cndmask_b32_e32 v13, -1, v13, vcc_lo
	buffer_load_dwordx4 v[29:32], v26, s[4:7], s1 offen
	v_mul_lo_u32 v26, s20, v50
	v_cndmask_b32_e32 v17, -1, v17, vcc_lo
	v_cndmask_b32_e32 v1, -1, v1, vcc_lo
	;; [unrolled: 1-line block ×3, first 2 shown]
	s_clause 0x3
	buffer_load_dwordx4 v[5:8], v5, s[4:7], s1 offen
	buffer_load_dwordx4 v[9:12], v9, s[4:7], s1 offen
	;; [unrolled: 1-line block ×4, first 2 shown]
	v_add_lshl_u32 v25, v25, v26, 4
	s_clause 0x1
	buffer_load_dwordx4 v[17:20], v17, s[4:7], s1 offen
	buffer_load_dwordx4 v[21:24], v21, s[4:7], s1 offen
	v_cndmask_b32_e32 v25, -1, v25, vcc_lo
	buffer_load_dwordx4 v[33:36], v25, s[4:7], s1 offen
	s_mov_b32 s4, 0x667f3bcd
	s_mov_b32 s5, 0xbfe6a09e
	;; [unrolled: 1-line block ×3, first 2 shown]
	s_add_i32 s1, 0, 0x8000
	s_waitcnt vmcnt(5)
	v_add_f64 v[25:26], v[9:10], -v[29:30]
	v_add_f64 v[29:30], v[11:12], -v[31:32]
	s_waitcnt vmcnt(2)
	v_add_f64 v[17:18], v[1:2], -v[17:18]
	v_add_f64 v[19:20], v[3:4], -v[19:20]
	;; [unrolled: 3-line block ×4, first 2 shown]
	v_fma_f64 v[9:10], v[9:10], 2.0, -v[25:26]
	v_fma_f64 v[11:12], v[11:12], 2.0, -v[29:30]
	v_fma_f64 v[1:2], v[1:2], 2.0, -v[17:18]
	v_fma_f64 v[3:4], v[3:4], 2.0, -v[19:20]
	v_fma_f64 v[5:6], v[5:6], 2.0, -v[21:22]
	v_fma_f64 v[7:8], v[7:8], 2.0, -v[23:24]
	v_add_f64 v[39:40], v[17:18], v[29:30]
	v_add_f64 v[51:52], v[19:20], -v[25:26]
	v_fma_f64 v[13:14], v[13:14], 2.0, -v[31:32]
	v_fma_f64 v[15:16], v[15:16], 2.0, -v[33:34]
	v_add_f64 v[31:32], v[23:24], -v[31:32]
	v_add_f64 v[35:36], v[1:2], -v[9:10]
	;; [unrolled: 1-line block ×3, first 2 shown]
	v_fma_f64 v[17:18], v[17:18], 2.0, -v[39:40]
	v_fma_f64 v[19:20], v[19:20], 2.0, -v[51:52]
	v_add_f64 v[25:26], v[5:6], -v[13:14]
	v_add_f64 v[29:30], v[7:8], -v[15:16]
	v_fma_f64 v[15:16], v[23:24], 2.0, -v[31:32]
	v_fma_f64 v[9:10], v[1:2], 2.0, -v[35:36]
	;; [unrolled: 1-line block ×5, first 2 shown]
	v_add_f64 v[5:6], v[21:22], v[33:34]
	v_fma_f64 v[33:34], v[31:32], s[10:11], v[51:52]
	v_add_f64 v[1:2], v[9:10], -v[1:2]
	v_add_f64 v[3:4], v[11:12], -v[3:4]
	v_fma_f64 v[13:14], v[21:22], 2.0, -v[5:6]
	v_fma_f64 v[21:22], v[15:16], s[4:5], v[19:20]
	v_fma_f64 v[7:8], v[9:10], 2.0, -v[1:2]
	v_fma_f64 v[9:10], v[11:12], 2.0, -v[3:4]
	v_fma_f64 v[11:12], v[13:14], s[4:5], v[17:18]
	v_fma_f64 v[13:14], v[13:14], s[4:5], v[21:22]
	v_add_f64 v[21:22], v[37:38], -v[25:26]
	v_fma_f64 v[11:12], v[15:16], s[10:11], v[11:12]
	v_fma_f64 v[25:26], v[37:38], 2.0, -v[21:22]
	v_fma_f64 v[15:16], v[17:18], 2.0, -v[11:12]
	;; [unrolled: 1-line block ×3, first 2 shown]
	v_add_f64 v[19:20], v[35:36], v[29:30]
	v_fma_f64 v[29:30], v[5:6], s[10:11], v[39:40]
	v_fma_f64 v[23:24], v[35:36], 2.0, -v[19:20]
	v_fma_f64 v[29:30], v[31:32], s[10:11], v[29:30]
	v_fma_f64 v[31:32], v[5:6], s[4:5], v[33:34]
	v_lshlrev_b32_e32 v5, 9, v43
	v_lshlrev_b32_e32 v6, 4, v42
	v_add3_u32 v5, 0, v5, v6
	v_fma_f64 v[33:34], v[39:40], 2.0, -v[29:30]
	v_fma_f64 v[35:36], v[51:52], 2.0, -v[31:32]
	ds_write_b128 v5, v[7:10]
	ds_write_b128 v5, v[15:18] offset:64
	ds_write_b128 v5, v[23:26] offset:128
	;; [unrolled: 1-line block ×7, first 2 shown]
	v_bfe_u32 v7, v0, 2, 3
	v_mad_i32_i24 v5, 0xfffffe40, v43, v5
	s_waitcnt lgkmcnt(0)
	s_barrier
	buffer_gl0_inv
	v_mul_u32_u24_e32 v37, 7, v7
	ds_read_b128 v[1:4], v5
	ds_read_b128 v[8:11], v5 offset:4096
	ds_read_b128 v[12:15], v5 offset:8192
	ds_read_b128 v[16:19], v5 offset:12288
	ds_read_b128 v[20:23], v5 offset:16384
	ds_read_b128 v[24:27], v5 offset:20480
	ds_read_b128 v[29:32], v5 offset:24576
	ds_read_b128 v[33:36], v5 offset:28672
	v_lshlrev_b32_e32 v0, 1, v0
	v_lshlrev_b32_e32 v65, 4, v37
	s_clause 0x3
	global_load_dwordx4 v[37:40], v65, s[8:9] offset:48
	global_load_dwordx4 v[51:54], v65, s[8:9] offset:32
	;; [unrolled: 1-line block ×3, first 2 shown]
	global_load_dwordx4 v[59:62], v65, s[8:9]
	v_and_or_b32 v0, 0x1c0, v0, v7
	v_lshlrev_b32_e32 v0, 6, v0
	v_add3_u32 v0, 0, v0, v6
	s_waitcnt vmcnt(0) lgkmcnt(6)
	v_mul_f64 v[63:64], v[10:11], v[61:62]
	v_fma_f64 v[63:64], v[8:9], v[59:60], v[63:64]
	v_mul_f64 v[8:9], v[8:9], v[61:62]
	v_fma_f64 v[59:60], v[10:11], v[59:60], -v[8:9]
	s_waitcnt lgkmcnt(5)
	v_mul_f64 v[8:9], v[14:15], v[57:58]
	v_fma_f64 v[61:62], v[12:13], v[55:56], v[8:9]
	v_mul_f64 v[8:9], v[12:13], v[57:58]
	v_fma_f64 v[55:56], v[14:15], v[55:56], -v[8:9]
	s_waitcnt lgkmcnt(4)
	;; [unrolled: 5-line block ×3, first 2 shown]
	v_mul_f64 v[8:9], v[22:23], v[39:40]
	v_fma_f64 v[53:54], v[20:21], v[37:38], v[8:9]
	v_mul_f64 v[8:9], v[20:21], v[39:40]
	v_fma_f64 v[20:21], v[22:23], v[37:38], -v[8:9]
	s_clause 0x2
	global_load_dwordx4 v[8:11], v65, s[8:9] offset:96
	global_load_dwordx4 v[12:15], v65, s[8:9] offset:80
	;; [unrolled: 1-line block ×3, first 2 shown]
	s_waitcnt vmcnt(0) lgkmcnt(0)
	s_barrier
	buffer_gl0_inv
	v_add_f64 v[20:21], v[3:4], -v[20:21]
	v_fma_f64 v[3:4], v[3:4], 2.0, -v[20:21]
	v_mul_f64 v[22:23], v[26:27], v[18:19]
	v_mul_f64 v[18:19], v[24:25], v[18:19]
	v_fma_f64 v[22:23], v[24:25], v[16:17], v[22:23]
	v_fma_f64 v[16:17], v[26:27], v[16:17], -v[18:19]
	v_mul_f64 v[18:19], v[31:32], v[14:15]
	v_mul_f64 v[14:15], v[29:30], v[14:15]
	v_add_f64 v[22:23], v[63:64], -v[22:23]
	v_add_f64 v[16:17], v[59:60], -v[16:17]
	v_fma_f64 v[18:19], v[29:30], v[12:13], v[18:19]
	v_fma_f64 v[12:13], v[31:32], v[12:13], -v[14:15]
	v_mul_f64 v[14:15], v[35:36], v[10:11]
	v_mul_f64 v[10:11], v[33:34], v[10:11]
	v_fma_f64 v[29:30], v[63:64], 2.0, -v[22:23]
	v_fma_f64 v[31:32], v[59:60], 2.0, -v[16:17]
	v_add_f64 v[18:19], v[61:62], -v[18:19]
	v_add_f64 v[12:13], v[55:56], -v[12:13]
	v_fma_f64 v[14:15], v[33:34], v[8:9], v[14:15]
	v_fma_f64 v[8:9], v[35:36], v[8:9], -v[10:11]
	v_add_f64 v[10:11], v[1:2], -v[53:54]
	v_fma_f64 v[24:25], v[61:62], 2.0, -v[18:19]
	v_fma_f64 v[26:27], v[55:56], 2.0, -v[12:13]
	v_add_f64 v[14:15], v[57:58], -v[14:15]
	v_add_f64 v[8:9], v[51:52], -v[8:9]
	v_fma_f64 v[1:2], v[1:2], 2.0, -v[10:11]
	v_add_f64 v[53:54], v[20:21], -v[18:19]
	v_add_f64 v[26:27], v[3:4], -v[26:27]
	v_fma_f64 v[33:34], v[57:58], 2.0, -v[14:15]
	v_fma_f64 v[35:36], v[51:52], 2.0, -v[8:9]
	v_add_f64 v[24:25], v[1:2], -v[24:25]
	v_add_f64 v[51:52], v[10:11], v[12:13]
	v_fma_f64 v[20:21], v[20:21], 2.0, -v[53:54]
	v_fma_f64 v[39:40], v[3:4], 2.0, -v[26:27]
	v_add_f64 v[33:34], v[29:30], -v[33:34]
	v_add_f64 v[35:36], v[31:32], -v[35:36]
	v_fma_f64 v[37:38], v[1:2], 2.0, -v[24:25]
	v_fma_f64 v[18:19], v[10:11], 2.0, -v[51:52]
	;; [unrolled: 1-line block ×4, first 2 shown]
	v_add_f64 v[31:32], v[22:23], v[8:9]
	v_add_f64 v[29:30], v[16:17], -v[14:15]
	v_add_f64 v[1:2], v[37:38], -v[1:2]
	;; [unrolled: 1-line block ×3, first 2 shown]
	v_fma_f64 v[14:15], v[22:23], 2.0, -v[31:32]
	v_fma_f64 v[12:13], v[16:17], 2.0, -v[29:30]
	;; [unrolled: 1-line block ×4, first 2 shown]
	v_fma_f64 v[16:17], v[14:15], s[4:5], v[18:19]
	v_fma_f64 v[22:23], v[12:13], s[4:5], v[20:21]
	;; [unrolled: 1-line block ×4, first 2 shown]
	v_add_f64 v[22:23], v[26:27], -v[33:34]
	v_fma_f64 v[33:34], v[31:32], s[10:11], v[51:52]
	v_fma_f64 v[16:17], v[18:19], 2.0, -v[12:13]
	v_fma_f64 v[18:19], v[20:21], 2.0, -v[14:15]
	v_add_f64 v[20:21], v[24:25], v[35:36]
	v_fma_f64 v[35:36], v[29:30], s[10:11], v[53:54]
	v_fma_f64 v[29:30], v[29:30], s[10:11], v[33:34]
	v_fma_f64 v[26:27], v[26:27], 2.0, -v[22:23]
	v_fma_f64 v[24:25], v[24:25], 2.0, -v[20:21]
	v_fma_f64 v[31:32], v[31:32], s[4:5], v[35:36]
	v_fma_f64 v[33:34], v[51:52], 2.0, -v[29:30]
	v_fma_f64 v[35:36], v[53:54], 2.0, -v[31:32]
	ds_write_b128 v0, v[8:11]
	ds_write_b128 v0, v[16:19] offset:512
	ds_write_b128 v0, v[24:27] offset:1024
	ds_write_b128 v0, v[33:36] offset:1536
	ds_write_b128 v0, v[1:4] offset:2048
	ds_write_b128 v0, v[12:15] offset:2560
	ds_write_b128 v0, v[20:23] offset:3072
	ds_write_b128 v0, v[29:32] offset:3584
	v_mul_u32_u24_e32 v4, 7, v43
	s_waitcnt lgkmcnt(0)
	s_barrier
	buffer_gl0_inv
	ds_read_b128 v[0:3], v5
	ds_read_b128 v[6:9], v5 offset:4096
	ds_read_b128 v[10:13], v5 offset:8192
	;; [unrolled: 1-line block ×7, first 2 shown]
	v_lshlrev_b32_e32 v63, 4, v4
	s_clause 0x3
	global_load_dwordx4 v[37:40], v63, s[8:9] offset:944
	global_load_dwordx4 v[51:54], v63, s[8:9] offset:928
	global_load_dwordx4 v[55:58], v63, s[8:9] offset:912
	global_load_dwordx4 v[59:62], v63, s[8:9] offset:896
	s_waitcnt vmcnt(0) lgkmcnt(6)
	v_mul_f64 v[4:5], v[8:9], v[61:62]
	v_fma_f64 v[26:27], v[6:7], v[59:60], v[4:5]
	v_mul_f64 v[4:5], v[6:7], v[61:62]
	v_fma_f64 v[59:60], v[8:9], v[59:60], -v[4:5]
	s_waitcnt lgkmcnt(5)
	v_mul_f64 v[4:5], v[12:13], v[57:58]
	v_fma_f64 v[61:62], v[10:11], v[55:56], v[4:5]
	v_mul_f64 v[4:5], v[10:11], v[57:58]
	v_fma_f64 v[55:56], v[12:13], v[55:56], -v[4:5]
	s_waitcnt lgkmcnt(4)
	;; [unrolled: 5-line block ×3, first 2 shown]
	v_mul_f64 v[4:5], v[20:21], v[39:40]
	v_fma_f64 v[51:52], v[18:19], v[37:38], v[4:5]
	v_mul_f64 v[4:5], v[18:19], v[39:40]
	v_fma_f64 v[18:19], v[20:21], v[37:38], -v[4:5]
	s_clause 0x2
	global_load_dwordx4 v[4:7], v63, s[8:9] offset:992
	global_load_dwordx4 v[8:11], v63, s[8:9] offset:976
	global_load_dwordx4 v[12:15], v63, s[8:9] offset:960
	v_add_f64 v[18:19], v[2:3], -v[18:19]
	v_fma_f64 v[2:3], v[2:3], 2.0, -v[18:19]
	s_waitcnt vmcnt(0) lgkmcnt(2)
	v_mul_f64 v[20:21], v[24:25], v[14:15]
	v_mul_f64 v[14:15], v[22:23], v[14:15]
	v_fma_f64 v[20:21], v[22:23], v[12:13], v[20:21]
	v_fma_f64 v[12:13], v[24:25], v[12:13], -v[14:15]
	s_waitcnt lgkmcnt(1)
	v_mul_f64 v[14:15], v[31:32], v[10:11]
	v_mul_f64 v[10:11], v[29:30], v[10:11]
	v_add_f64 v[20:21], v[26:27], -v[20:21]
	v_add_f64 v[12:13], v[59:60], -v[12:13]
	v_fma_f64 v[14:15], v[29:30], v[8:9], v[14:15]
	v_fma_f64 v[8:9], v[31:32], v[8:9], -v[10:11]
	s_waitcnt lgkmcnt(0)
	v_mul_f64 v[10:11], v[35:36], v[6:7]
	v_mul_f64 v[6:7], v[33:34], v[6:7]
	v_fma_f64 v[26:27], v[26:27], 2.0, -v[20:21]
	v_fma_f64 v[29:30], v[59:60], 2.0, -v[12:13]
	v_add_f64 v[14:15], v[61:62], -v[14:15]
	v_add_f64 v[8:9], v[55:56], -v[8:9]
	v_fma_f64 v[10:11], v[33:34], v[4:5], v[10:11]
	v_fma_f64 v[4:5], v[35:36], v[4:5], -v[6:7]
	v_add_f64 v[6:7], v[0:1], -v[51:52]
	v_mul_lo_u32 v60, v43, v28
	v_fma_f64 v[22:23], v[61:62], 2.0, -v[14:15]
	v_fma_f64 v[24:25], v[55:56], 2.0, -v[8:9]
	v_add_f64 v[10:11], v[57:58], -v[10:11]
	v_add_f64 v[4:5], v[16:17], -v[4:5]
	v_fma_f64 v[0:1], v[0:1], 2.0, -v[6:7]
	v_add_f64 v[53:54], v[18:19], -v[14:15]
	v_add_f64 v[51:52], v[6:7], v[8:9]
	v_add_f64 v[24:25], v[2:3], -v[24:25]
	v_fma_f64 v[31:32], v[57:58], 2.0, -v[10:11]
	v_fma_f64 v[16:17], v[16:17], 2.0, -v[4:5]
	v_add_f64 v[39:40], v[0:1], -v[22:23]
	v_fma_f64 v[8:9], v[18:19], 2.0, -v[53:54]
	v_fma_f64 v[6:7], v[6:7], 2.0, -v[51:52]
	;; [unrolled: 1-line block ×3, first 2 shown]
	v_add_f64 v[14:15], v[26:27], -v[31:32]
	v_add_f64 v[16:17], v[29:30], -v[16:17]
	v_fma_f64 v[0:1], v[0:1], 2.0, -v[39:40]
	v_add_f64 v[31:32], v[20:21], v[4:5]
	v_fma_f64 v[2:3], v[26:27], 2.0, -v[14:15]
	v_fma_f64 v[26:27], v[29:30], 2.0, -v[16:17]
	v_add_f64 v[29:30], v[12:13], -v[10:11]
	v_fma_f64 v[10:11], v[20:21], 2.0, -v[31:32]
	v_add_f64 v[35:36], v[24:25], -v[14:15]
	v_add_f64 v[33:34], v[39:40], v[16:17]
	v_add_f64 v[18:19], v[0:1], -v[2:3]
	v_add_f64 v[20:21], v[22:23], -v[26:27]
	v_fma_f64 v[12:13], v[12:13], 2.0, -v[29:30]
	v_fma_f64 v[14:15], v[29:30], s[10:11], v[53:54]
	v_fma_f64 v[2:3], v[0:1], 2.0, -v[18:19]
	v_fma_f64 v[0:1], v[10:11], s[4:5], v[6:7]
	;; [unrolled: 2-line block ×3, first 2 shown]
	v_fma_f64 v[22:23], v[12:13], s[10:11], v[0:1]
	v_fma_f64 v[0:1], v[31:32], s[10:11], v[51:52]
	;; [unrolled: 1-line block ×3, first 2 shown]
	v_fma_f64 v[12:13], v[24:25], 2.0, -v[35:36]
	v_lshlrev_b32_e32 v24, 6, v28
	v_fma_f64 v[37:38], v[10:11], s[4:5], v[26:27]
	v_fma_f64 v[10:11], v[39:40], 2.0, -v[33:34]
	s_mov_b32 s4, s18
	s_mov_b32 s5, s19
	v_add_nc_u32_e32 v62, v60, v24
	v_add_nc_u32_e32 v63, v62, v24
	v_fma_f64 v[6:7], v[6:7], 2.0, -v[22:23]
	v_fma_f64 v[29:30], v[29:30], s[10:11], v[0:1]
	v_fma_f64 v[16:17], v[53:54], 2.0, -v[31:32]
	v_lshl_add_u32 v53, v28, 7, v63
	v_lshrrev_b32_e32 v54, 2, v60
	v_and_b32_e32 v0, 63, v60
	v_fma_f64 v[8:9], v[8:9], 2.0, -v[37:38]
	v_and_b32_e32 v54, 0x3f0, v54
	v_lshl_add_u32 v0, v0, 4, 0
	v_add_nc_u32_e32 v54, s1, v54
	ds_read_b64 v[0:1], v0 offset:32768
	v_fma_f64 v[14:15], v[51:52], 2.0, -v[29:30]
	v_add_nc_u32_e32 v52, v53, v24
	v_add_nc_u32_e32 v51, v52, v24
	v_and_b32_e32 v24, 63, v51
	v_lshl_add_u32 v39, v24, 4, 0
	ds_read_b128 v[24:27], v39 offset:32768
	ds_read_b64 v[39:40], v39 offset:32776
	ds_read_b128 v[54:57], v54 offset:1024
	s_waitcnt lgkmcnt(0)
	v_mul_f64 v[58:59], v[26:27], v[56:57]
	v_fma_f64 v[58:59], v[0:1], v[54:55], -v[58:59]
	v_mul_f64 v[0:1], v[0:1], v[56:57]
	v_fma_f64 v[0:1], v[26:27], v[54:55], v[0:1]
	v_lshrrev_b32_e32 v26, 8, v60
	v_and_b32_e32 v26, 0x3f0, v26
	v_add_nc_u32_e32 v26, s1, v26
	ds_read_b128 v[54:57], v26 offset:2048
	s_waitcnt lgkmcnt(0)
	v_mul_f64 v[26:27], v[0:1], v[56:57]
	v_mul_f64 v[56:57], v[58:59], v[56:57]
	v_fma_f64 v[26:27], v[54:55], v[58:59], -v[26:27]
	v_fma_f64 v[54:55], v[54:55], v[0:1], v[56:57]
	v_mul_f64 v[0:1], v[4:5], v[54:55]
	v_fma_f64 v[0:1], v[2:3], v[26:27], v[0:1]
	v_mul_f64 v[2:3], v[2:3], v[54:55]
	v_fma_f64 v[2:3], v[4:5], v[26:27], -v[2:3]
	v_and_b32_e32 v4, 63, v62
	v_lshl_add_u32 v4, v4, 4, 0
	v_add_nc_u32_e32 v4, 0x8000, v4
	ds_read2_b64 v[54:57], v4 offset1:1
	v_lshrrev_b32_e32 v4, 2, v62
	v_and_b32_e32 v4, 0x3f0, v4
	v_add_nc_u32_e32 v4, s1, v4
	ds_read_b128 v[58:61], v4 offset:1024
	s_waitcnt lgkmcnt(0)
	v_mul_f64 v[4:5], v[56:57], v[60:61]
	v_mul_f64 v[26:27], v[54:55], v[60:61]
	v_fma_f64 v[4:5], v[54:55], v[58:59], -v[4:5]
	v_lshrrev_b32_e32 v54, 8, v62
	v_fma_f64 v[26:27], v[56:57], v[58:59], v[26:27]
	v_mul_lo_u32 v62, v44, v28
	v_mul_lo_u32 v28, v50, v28
	v_and_b32_e32 v54, 0x3f0, v54
	v_add_nc_u32_e32 v54, s1, v54
	ds_read_b128 v[54:57], v54 offset:2048
	s_waitcnt lgkmcnt(0)
	v_mul_f64 v[58:59], v[26:27], v[56:57]
	v_fma_f64 v[58:59], v[54:55], v[4:5], -v[58:59]
	v_mul_f64 v[4:5], v[4:5], v[56:57]
	v_fma_f64 v[26:27], v[54:55], v[26:27], v[4:5]
	v_mul_f64 v[4:5], v[8:9], v[26:27]
	v_fma_f64 v[4:5], v[6:7], v[58:59], v[4:5]
	v_mul_f64 v[6:7], v[6:7], v[26:27]
	v_fma_f64 v[6:7], v[8:9], v[58:59], -v[6:7]
	v_and_b32_e32 v8, 63, v63
	v_lshl_add_u32 v8, v8, 4, 0
	v_add_nc_u32_e32 v8, 0x8000, v8
	ds_read2_b64 v[54:57], v8 offset1:1
	v_lshrrev_b32_e32 v8, 2, v63
	v_and_b32_e32 v8, 0x3f0, v8
	v_add_nc_u32_e32 v8, s1, v8
	ds_read_b128 v[58:61], v8 offset:1024
	s_waitcnt lgkmcnt(0)
	v_mul_f64 v[8:9], v[56:57], v[60:61]
	v_mul_f64 v[26:27], v[54:55], v[60:61]
	v_fma_f64 v[8:9], v[54:55], v[58:59], -v[8:9]
	v_lshrrev_b32_e32 v54, 8, v63
	v_fma_f64 v[26:27], v[56:57], v[58:59], v[26:27]
	v_and_b32_e32 v54, 0x3f0, v54
	v_add_nc_u32_e32 v54, s1, v54
	ds_read_b128 v[54:57], v54 offset:2048
	s_waitcnt lgkmcnt(0)
	v_mul_f64 v[58:59], v[26:27], v[56:57]
	v_fma_f64 v[58:59], v[54:55], v[8:9], -v[58:59]
	v_mul_f64 v[8:9], v[8:9], v[56:57]
	v_fma_f64 v[26:27], v[54:55], v[26:27], v[8:9]
	v_mul_f64 v[8:9], v[12:13], v[26:27]
	v_fma_f64 v[8:9], v[10:11], v[58:59], v[8:9]
	v_mul_f64 v[10:11], v[10:11], v[26:27]
	v_fma_f64 v[10:11], v[12:13], v[58:59], -v[10:11]
	v_and_b32_e32 v12, 63, v62
	v_lshl_add_u32 v12, v12, 4, 0
	ds_read_b128 v[54:57], v12 offset:32768
	v_lshrrev_b32_e32 v12, 2, v62
	v_and_b32_e32 v12, 0x3f0, v12
	v_add_nc_u32_e32 v12, s1, v12
	ds_read_b128 v[58:61], v12 offset:1024
	s_waitcnt lgkmcnt(0)
	v_mul_f64 v[12:13], v[56:57], v[60:61]
	v_mul_f64 v[26:27], v[54:55], v[60:61]
	v_fma_f64 v[12:13], v[54:55], v[58:59], -v[12:13]
	v_lshrrev_b32_e32 v54, 8, v62
	v_fma_f64 v[26:27], v[56:57], v[58:59], v[26:27]
	v_and_b32_e32 v54, 0x3f0, v54
	v_add_nc_u32_e32 v54, s1, v54
	ds_read_b128 v[54:57], v54 offset:2048
	s_waitcnt lgkmcnt(0)
	v_mul_f64 v[58:59], v[26:27], v[56:57]
	v_fma_f64 v[58:59], v[54:55], v[12:13], -v[58:59]
	v_mul_f64 v[12:13], v[12:13], v[56:57]
	v_fma_f64 v[26:27], v[54:55], v[26:27], v[12:13]
	v_mul_f64 v[12:13], v[16:17], v[26:27]
	v_fma_f64 v[12:13], v[14:15], v[58:59], v[12:13]
	v_mul_f64 v[14:15], v[14:15], v[26:27]
	v_fma_f64 v[14:15], v[16:17], v[58:59], -v[14:15]
	v_and_b32_e32 v16, 63, v53
	v_lshl_add_u32 v16, v16, 4, 0
	v_add_nc_u32_e32 v16, 0x8000, v16
	ds_read2_b64 v[54:57], v16 offset1:1
	v_lshrrev_b32_e32 v16, 2, v53
	v_lshrrev_b32_e32 v53, 8, v53
	v_and_b32_e32 v16, 0x3f0, v16
	v_and_b32_e32 v53, 0x3f0, v53
	v_add_nc_u32_e32 v16, s1, v16
	v_add_nc_u32_e32 v53, s1, v53
	ds_read_b128 v[58:61], v16 offset:1024
	s_waitcnt lgkmcnt(0)
	v_mul_f64 v[26:27], v[54:55], v[60:61]
	v_mul_f64 v[16:17], v[56:57], v[60:61]
	v_fma_f64 v[26:27], v[56:57], v[58:59], v[26:27]
	v_fma_f64 v[16:17], v[54:55], v[58:59], -v[16:17]
	ds_read_b128 v[53:56], v53 offset:2048
	s_waitcnt lgkmcnt(0)
	v_mul_f64 v[57:58], v[26:27], v[55:56]
	v_fma_f64 v[57:58], v[53:54], v[16:17], -v[57:58]
	v_mul_f64 v[16:17], v[16:17], v[55:56]
	v_fma_f64 v[26:27], v[53:54], v[26:27], v[16:17]
	v_mul_f64 v[16:17], v[20:21], v[26:27]
	v_fma_f64 v[16:17], v[18:19], v[57:58], v[16:17]
	v_mul_f64 v[18:19], v[18:19], v[26:27]
	v_fma_f64 v[18:19], v[20:21], v[57:58], -v[18:19]
	v_and_b32_e32 v20, 63, v52
	v_lshl_add_u32 v20, v20, 4, 0
	v_add_nc_u32_e32 v20, 0x8000, v20
	ds_read2_b64 v[53:56], v20 offset1:1
	v_lshrrev_b32_e32 v20, 2, v52
	v_lshrrev_b32_e32 v52, 8, v52
	v_and_b32_e32 v20, 0x3f0, v20
	v_and_b32_e32 v52, 0x3f0, v52
	v_add_nc_u32_e32 v20, s1, v20
	v_add_nc_u32_e32 v52, s1, v52
	ds_read_b128 v[57:60], v20 offset:1024
	s_waitcnt lgkmcnt(0)
	v_mul_f64 v[26:27], v[53:54], v[59:60]
	v_mul_f64 v[20:21], v[55:56], v[59:60]
	v_fma_f64 v[26:27], v[55:56], v[57:58], v[26:27]
	v_fma_f64 v[20:21], v[53:54], v[57:58], -v[20:21]
	ds_read_b128 v[52:55], v52 offset:2048
	s_waitcnt lgkmcnt(0)
	v_mul_f64 v[56:57], v[26:27], v[54:55]
	v_fma_f64 v[56:57], v[52:53], v[20:21], -v[56:57]
	v_mul_f64 v[20:21], v[20:21], v[54:55]
	v_fma_f64 v[26:27], v[52:53], v[26:27], v[20:21]
	v_mul_f64 v[20:21], v[37:38], v[26:27]
	v_fma_f64 v[20:21], v[22:23], v[56:57], v[20:21]
	v_mul_f64 v[22:23], v[22:23], v[26:27]
	v_lshrrev_b32_e32 v26, 2, v51
	v_and_b32_e32 v26, 0x3f0, v26
	v_add_nc_u32_e32 v26, s1, v26
	ds_read_b128 v[52:55], v26 offset:1024
	v_fma_f64 v[22:23], v[37:38], v[56:57], -v[22:23]
	s_waitcnt lgkmcnt(0)
	v_mul_f64 v[26:27], v[39:40], v[54:55]
	v_fma_f64 v[37:38], v[24:25], v[52:53], -v[26:27]
	v_mul_f64 v[24:25], v[24:25], v[54:55]
	v_fma_f64 v[39:40], v[39:40], v[52:53], v[24:25]
	v_lshrrev_b32_e32 v24, 8, v51
	v_and_b32_e32 v24, 0x3f0, v24
	v_add_nc_u32_e32 v24, s1, v24
	ds_read_b128 v[24:27], v24 offset:2048
	s_waitcnt lgkmcnt(0)
	v_mul_f64 v[51:52], v[39:40], v[26:27]
	v_mul_f64 v[26:27], v[37:38], v[26:27]
	v_fma_f64 v[51:52], v[24:25], v[37:38], -v[51:52]
	v_fma_f64 v[26:27], v[24:25], v[39:40], v[26:27]
	v_lshrrev_b32_e32 v37, 2, v28
	v_and_b32_e32 v37, 0x3f0, v37
	v_add_nc_u32_e32 v37, s1, v37
	ds_read_b128 v[37:40], v37 offset:1024
	v_mul_f64 v[24:25], v[35:36], v[26:27]
	v_mul_f64 v[26:27], v[33:34], v[26:27]
	v_fma_f64 v[24:25], v[33:34], v[51:52], v[24:25]
	v_and_b32_e32 v33, 63, v28
	v_fma_f64 v[26:27], v[35:36], v[51:52], -v[26:27]
	v_lshrrev_b32_e32 v28, 8, v28
	v_lshl_add_u32 v33, v33, 4, 0
	v_and_b32_e32 v28, 0x3f0, v28
	ds_read_b128 v[33:36], v33 offset:32768
	v_add_nc_u32_e32 v28, s1, v28
	s_waitcnt lgkmcnt(0)
	v_mul_f64 v[51:52], v[35:36], v[39:40]
	v_fma_f64 v[51:52], v[33:34], v[37:38], -v[51:52]
	v_mul_f64 v[33:34], v[33:34], v[39:40]
	v_fma_f64 v[37:38], v[35:36], v[37:38], v[33:34]
	ds_read_b128 v[33:36], v28 offset:2048
	s_waitcnt lgkmcnt(0)
	v_mul_f64 v[39:40], v[37:38], v[35:36]
	v_mul_f64 v[35:36], v[51:52], v[35:36]
	v_fma_f64 v[39:40], v[33:34], v[51:52], -v[39:40]
	v_fma_f64 v[35:36], v[33:34], v[37:38], v[35:36]
	v_mul_f64 v[33:34], v[31:32], v[35:36]
	v_fma_f64 v[33:34], v[29:30], v[39:40], v[33:34]
	v_mul_f64 v[28:29], v[29:30], v[35:36]
	v_lshlrev_b32_e32 v30, 4, v41
	v_readfirstlane_b32 s1, v30
	v_fma_f64 v[35:36], v[31:32], v[39:40], -v[28:29]
	v_mul_lo_u32 v28, s2, v42
	v_mul_lo_u32 v29, s0, v43
	v_add_lshl_u32 v29, v28, v29, 4
	v_cndmask_b32_e32 v29, -1, v29, vcc_lo
	buffer_store_dwordx4 v[0:3], v29, s[4:7], s1 offen
	v_mul_lo_u32 v0, s0, v45
	v_add_lshl_u32 v0, v28, v0, 4
	v_cndmask_b32_e32 v0, -1, v0, vcc_lo
	buffer_store_dwordx4 v[4:7], v0, s[4:7], s1 offen
	;; [unrolled: 4-line block ×8, first 2 shown]
	s_endpgm
	.section	.rodata,"a",@progbits
	.p2align	6, 0x0
	.amdhsa_kernel fft_rtc_back_len512_factors_8_8_8_wgs_256_tpt_64_dp_op_CI_CI_sbcc_twdbase6_3step_dirReg_intrinsicReadWrite
		.amdhsa_group_segment_fixed_size 0
		.amdhsa_private_segment_fixed_size 0
		.amdhsa_kernarg_size 112
		.amdhsa_user_sgpr_count 6
		.amdhsa_user_sgpr_private_segment_buffer 1
		.amdhsa_user_sgpr_dispatch_ptr 0
		.amdhsa_user_sgpr_queue_ptr 0
		.amdhsa_user_sgpr_kernarg_segment_ptr 1
		.amdhsa_user_sgpr_dispatch_id 0
		.amdhsa_user_sgpr_flat_scratch_init 0
		.amdhsa_user_sgpr_private_segment_size 0
		.amdhsa_wavefront_size32 1
		.amdhsa_uses_dynamic_stack 0
		.amdhsa_system_sgpr_private_segment_wavefront_offset 0
		.amdhsa_system_sgpr_workgroup_id_x 1
		.amdhsa_system_sgpr_workgroup_id_y 0
		.amdhsa_system_sgpr_workgroup_id_z 0
		.amdhsa_system_sgpr_workgroup_info 0
		.amdhsa_system_vgpr_workitem_id 0
		.amdhsa_next_free_vgpr 66
		.amdhsa_next_free_sgpr 50
		.amdhsa_reserve_vcc 1
		.amdhsa_reserve_flat_scratch 0
		.amdhsa_float_round_mode_32 0
		.amdhsa_float_round_mode_16_64 0
		.amdhsa_float_denorm_mode_32 3
		.amdhsa_float_denorm_mode_16_64 3
		.amdhsa_dx10_clamp 1
		.amdhsa_ieee_mode 1
		.amdhsa_fp16_overflow 0
		.amdhsa_workgroup_processor_mode 1
		.amdhsa_memory_ordered 1
		.amdhsa_forward_progress 0
		.amdhsa_shared_vgpr_count 0
		.amdhsa_exception_fp_ieee_invalid_op 0
		.amdhsa_exception_fp_denorm_src 0
		.amdhsa_exception_fp_ieee_div_zero 0
		.amdhsa_exception_fp_ieee_overflow 0
		.amdhsa_exception_fp_ieee_underflow 0
		.amdhsa_exception_fp_ieee_inexact 0
		.amdhsa_exception_int_div_zero 0
	.end_amdhsa_kernel
	.text
.Lfunc_end0:
	.size	fft_rtc_back_len512_factors_8_8_8_wgs_256_tpt_64_dp_op_CI_CI_sbcc_twdbase6_3step_dirReg_intrinsicReadWrite, .Lfunc_end0-fft_rtc_back_len512_factors_8_8_8_wgs_256_tpt_64_dp_op_CI_CI_sbcc_twdbase6_3step_dirReg_intrinsicReadWrite
                                        ; -- End function
	.section	.AMDGPU.csdata,"",@progbits
; Kernel info:
; codeLenInByte = 5796
; NumSgprs: 52
; NumVgprs: 66
; ScratchSize: 0
; MemoryBound: 0
; FloatMode: 240
; IeeeMode: 1
; LDSByteSize: 0 bytes/workgroup (compile time only)
; SGPRBlocks: 6
; VGPRBlocks: 8
; NumSGPRsForWavesPerEU: 52
; NumVGPRsForWavesPerEU: 66
; Occupancy: 12
; WaveLimiterHint : 0
; COMPUTE_PGM_RSRC2:SCRATCH_EN: 0
; COMPUTE_PGM_RSRC2:USER_SGPR: 6
; COMPUTE_PGM_RSRC2:TRAP_HANDLER: 0
; COMPUTE_PGM_RSRC2:TGID_X_EN: 1
; COMPUTE_PGM_RSRC2:TGID_Y_EN: 0
; COMPUTE_PGM_RSRC2:TGID_Z_EN: 0
; COMPUTE_PGM_RSRC2:TIDIG_COMP_CNT: 0
	.text
	.p2alignl 6, 3214868480
	.fill 48, 4, 3214868480
	.type	__hip_cuid_9a67f212cbfdad55,@object ; @__hip_cuid_9a67f212cbfdad55
	.section	.bss,"aw",@nobits
	.globl	__hip_cuid_9a67f212cbfdad55
__hip_cuid_9a67f212cbfdad55:
	.byte	0                               ; 0x0
	.size	__hip_cuid_9a67f212cbfdad55, 1

	.ident	"AMD clang version 19.0.0git (https://github.com/RadeonOpenCompute/llvm-project roc-6.4.0 25133 c7fe45cf4b819c5991fe208aaa96edf142730f1d)"
	.section	".note.GNU-stack","",@progbits
	.addrsig
	.addrsig_sym __hip_cuid_9a67f212cbfdad55
	.amdgpu_metadata
---
amdhsa.kernels:
  - .args:
      - .actual_access:  read_only
        .address_space:  global
        .offset:         0
        .size:           8
        .value_kind:     global_buffer
      - .address_space:  global
        .offset:         8
        .size:           8
        .value_kind:     global_buffer
      - .offset:         16
        .size:           8
        .value_kind:     by_value
      - .actual_access:  read_only
        .address_space:  global
        .offset:         24
        .size:           8
        .value_kind:     global_buffer
      - .actual_access:  read_only
        .address_space:  global
        .offset:         32
        .size:           8
        .value_kind:     global_buffer
      - .actual_access:  read_only
        .address_space:  global
        .offset:         40
        .size:           8
        .value_kind:     global_buffer
      - .offset:         48
        .size:           8
        .value_kind:     by_value
      - .actual_access:  read_only
        .address_space:  global
        .offset:         56
        .size:           8
        .value_kind:     global_buffer
      - .actual_access:  read_only
        .address_space:  global
        .offset:         64
        .size:           8
        .value_kind:     global_buffer
      - .offset:         72
        .size:           4
        .value_kind:     by_value
      - .actual_access:  read_only
        .address_space:  global
        .offset:         80
        .size:           8
        .value_kind:     global_buffer
      - .actual_access:  read_only
        .address_space:  global
        .offset:         88
        .size:           8
        .value_kind:     global_buffer
      - .address_space:  global
        .offset:         96
        .size:           8
        .value_kind:     global_buffer
      - .address_space:  global
        .offset:         104
        .size:           8
        .value_kind:     global_buffer
    .group_segment_fixed_size: 0
    .kernarg_segment_align: 8
    .kernarg_segment_size: 112
    .language:       OpenCL C
    .language_version:
      - 2
      - 0
    .max_flat_workgroup_size: 256
    .name:           fft_rtc_back_len512_factors_8_8_8_wgs_256_tpt_64_dp_op_CI_CI_sbcc_twdbase6_3step_dirReg_intrinsicReadWrite
    .private_segment_fixed_size: 0
    .sgpr_count:     52
    .sgpr_spill_count: 0
    .symbol:         fft_rtc_back_len512_factors_8_8_8_wgs_256_tpt_64_dp_op_CI_CI_sbcc_twdbase6_3step_dirReg_intrinsicReadWrite.kd
    .uniform_work_group_size: 1
    .uses_dynamic_stack: false
    .vgpr_count:     66
    .vgpr_spill_count: 0
    .wavefront_size: 32
    .workgroup_processor_mode: 1
amdhsa.target:   amdgcn-amd-amdhsa--gfx1030
amdhsa.version:
  - 1
  - 2
...

	.end_amdgpu_metadata
